;; amdgpu-corpus repo=ROCm/rocFFT kind=compiled arch=gfx1030 opt=O3
	.text
	.amdgcn_target "amdgcn-amd-amdhsa--gfx1030"
	.amdhsa_code_object_version 6
	.protected	bluestein_single_fwd_len384_dim1_sp_op_CI_CI ; -- Begin function bluestein_single_fwd_len384_dim1_sp_op_CI_CI
	.globl	bluestein_single_fwd_len384_dim1_sp_op_CI_CI
	.p2align	8
	.type	bluestein_single_fwd_len384_dim1_sp_op_CI_CI,@function
bluestein_single_fwd_len384_dim1_sp_op_CI_CI: ; @bluestein_single_fwd_len384_dim1_sp_op_CI_CI
; %bb.0:
	s_load_dwordx4 s[12:15], s[4:5], 0x28
	v_lshrrev_b32_e32 v1, 5, v0
	v_mov_b32_e32 v61, 0
	s_mov_b32 s0, exec_lo
	v_lshl_or_b32 v60, s6, 2, v1
	s_waitcnt lgkmcnt(0)
	v_cmpx_gt_u64_e64 s[12:13], v[60:61]
	s_cbranch_execz .LBB0_2
; %bb.1:
	s_clause 0x1
	s_load_dwordx4 s[0:3], s[4:5], 0x18
	s_load_dwordx4 s[8:11], s[4:5], 0x0
	v_and_b32_e32 v82, 31, v0
	v_mul_u32_u24_e32 v24, 0x180, v1
	s_load_dwordx2 s[4:5], s[4:5], 0x38
	v_lshlrev_b32_e32 v86, 3, v82
	v_or_b32_e32 v89, 0x800, v86
	v_or_b32_e32 v88, 0xa00, v86
	;; [unrolled: 1-line block ×4, first 2 shown]
	v_lshl_or_b32 v81, v24, 3, v86
	s_waitcnt lgkmcnt(0)
	s_load_dwordx4 s[16:19], s[0:1], 0x0
	s_add_u32 s6, s8, 0xc00
	s_addc_u32 s7, s9, 0
	s_clause 0x4
	global_load_dwordx2 v[40:41], v86, s[8:9]
	global_load_dwordx2 v[38:39], v86, s[8:9] offset:512
	global_load_dwordx2 v[36:37], v86, s[8:9] offset:1024
	global_load_dwordx2 v[42:43], v89, s[8:9]
	global_load_dwordx2 v[44:45], v88, s[8:9]
	v_add_nc_u32_e32 v79, 0x800, v81
	s_waitcnt lgkmcnt(0)
	v_mad_u64_u32 v[2:3], null, s18, v60, 0
	v_mad_u64_u32 v[4:5], null, s16, v82, 0
	s_lshl_b64 s[0:1], s[16:17], 9
	s_mul_i32 s12, s17, 0xfffff700
	s_sub_i32 s12, s12, s16
	v_mov_b32_e32 v0, v3
	v_mov_b32_e32 v3, v5
	v_mad_u64_u32 v[5:6], null, s19, v60, v[0:1]
	v_mad_u64_u32 v[6:7], null, s17, v82, v[3:4]
	v_mul_lo_u16 v1, v82, 43
	v_mov_b32_e32 v3, v5
	v_mov_b32_e32 v5, v6
	v_lshlrev_b64 v[2:3], 3, v[2:3]
	v_lshlrev_b64 v[4:5], 3, v[4:5]
	v_add_co_u32 v0, vcc_lo, s14, v2
	v_add_co_ci_u32_e32 v3, vcc_lo, s15, v3, vcc_lo
	v_add_co_u32 v2, vcc_lo, v0, v4
	v_add_co_ci_u32_e32 v3, vcc_lo, v3, v5, vcc_lo
	v_or_b32_e32 v0, v24, v82
	v_add_co_u32 v4, vcc_lo, v2, s0
	v_add_co_ci_u32_e32 v5, vcc_lo, s1, v3, vcc_lo
	global_load_dwordx2 v[2:3], v[2:3], off
	v_add_co_u32 v6, vcc_lo, v4, s0
	v_add_co_ci_u32_e32 v7, vcc_lo, s1, v5, vcc_lo
	global_load_dwordx2 v[4:5], v[4:5], off
	;; [unrolled: 3-line block ×3, first 2 shown]
	s_clause 0x1
	global_load_dwordx2 v[46:47], v86, s[8:9] offset:768
	global_load_dwordx2 v[48:49], v86, s[8:9] offset:256
	v_add_co_u32 v10, vcc_lo, v8, s0
	v_add_co_ci_u32_e32 v11, vcc_lo, s1, v9, vcc_lo
	global_load_dwordx2 v[8:9], v[8:9], off
	s_clause 0x1
	global_load_dwordx2 v[54:55], v86, s[8:9] offset:1536
	global_load_dwordx2 v[50:51], v86, s[8:9] offset:1792
	v_add_co_u32 v12, vcc_lo, v10, s0
	v_add_co_ci_u32_e32 v13, vcc_lo, s1, v11, vcc_lo
	global_load_dwordx2 v[10:11], v[10:11], off
	global_load_dwordx2 v[52:53], v86, s[8:9] offset:1280
	v_lshlrev_b32_e32 v80, 3, v0
	v_mad_u64_u32 v[14:15], null, 0xfffff700, s16, v[12:13]
	global_load_dwordx2 v[20:21], v[12:13], off
	v_add_nc_u32_e32 v15, s12, v15
	v_add_co_u32 v12, vcc_lo, v14, s0
	v_add_co_ci_u32_e32 v13, vcc_lo, s1, v15, vcc_lo
	global_load_dwordx2 v[22:23], v[14:15], off
	v_add_co_u32 v14, vcc_lo, v12, s0
	v_add_co_ci_u32_e32 v15, vcc_lo, s1, v13, vcc_lo
	global_load_dwordx2 v[25:26], v[12:13], off
	;; [unrolled: 3-line block ×4, first 2 shown]
	v_add_co_u32 v12, vcc_lo, v14, s0
	v_add_co_ci_u32_e32 v13, vcc_lo, s1, v15, vcc_lo
	global_load_dwordx2 v[56:57], v90, s[8:9]
	global_load_dwordx2 v[31:32], v[14:15], off
	global_load_dwordx2 v[58:59], v91, s[8:9]
	global_load_dwordx2 v[33:34], v[12:13], off
	v_or_b32_e32 v13, 64, v82
	v_or_b32_e32 v12, 32, v82
	v_lshrrev_b16 v14, 8, v1
	s_load_dwordx4 s[0:3], s[2:3], 0x0
	v_mul_u32_u24_e32 v15, 6, v82
	v_mul_lo_u16 v16, v13, 43
	v_mul_u32_u24_e32 v0, 6, v12
	v_mul_lo_u16 v1, v14, 6
	v_mul_lo_u16 v19, v12, 43
	v_add_lshl_u32 v83, v24, v15, 3
	v_lshrrev_b16 v17, 8, v16
	v_add_lshl_u32 v84, v24, v0, 3
	v_sub_nc_u16 v18, v82, v1
	v_lshrrev_b16 v15, 8, v19
	v_cmp_gt_u32_e32 vcc_lo, 24, v82
	v_mul_lo_u16 v1, v17, 6
	v_mul_lo_u16 v14, v14, 24
	;; [unrolled: 1-line block ×3, first 2 shown]
	v_sub_nc_u16 v63, v13, v1
	v_or_b32_e32 v14, v14, v18
	v_sub_nc_u16 v35, v12, v35
	s_waitcnt vmcnt(18)
	v_mul_f32_e32 v0, v3, v41
	v_mul_f32_e32 v61, v2, v41
	v_fmac_f32_e32 v0, v2, v40
	s_waitcnt vmcnt(17)
	v_mul_f32_e32 v2, v5, v39
	v_mul_f32_e32 v62, v4, v39
	v_fma_f32 v1, v3, v40, -v61
	s_waitcnt vmcnt(16)
	v_mul_f32_e32 v61, v7, v37
	v_mul_f32_e32 v64, v6, v37
	v_fmac_f32_e32 v2, v4, v38
	v_fma_f32 v3, v5, v38, -v62
	ds_write_b64 v80, v[0:1]
	s_waitcnt vmcnt(12)
	v_mul_f32_e32 v0, v9, v55
	v_mul_f32_e32 v1, v8, v55
	v_fmac_f32_e32 v61, v6, v36
	ds_write_b64 v80, v[2:3] offset:512
	v_fma_f32 v62, v7, v36, -v64
	s_waitcnt vmcnt(10)
	v_mul_f32_e32 v2, v11, v43
	v_mul_f32_e32 v3, v10, v43
	v_fmac_f32_e32 v0, v8, v54
	v_fma_f32 v1, v9, v54, -v1
	ds_write_b64 v81, v[61:62] offset:1024
	v_fmac_f32_e32 v2, v10, v42
	s_waitcnt vmcnt(8)
	v_mul_f32_e32 v4, v21, v45
	v_mul_f32_e32 v5, v20, v45
	v_fma_f32 v3, v11, v42, -v3
	ds_write_b64 v81, v[0:1] offset:1536
	v_fmac_f32_e32 v4, v20, v44
	v_fma_f32 v5, v21, v44, -v5
	ds_write_b64 v81, v[2:3] offset:2048
	ds_write_b64 v81, v[4:5] offset:2560
	v_and_b32_e32 v21, 0xff, v63
	v_and_b32_e32 v20, 0xff, v35
	s_waitcnt vmcnt(7)
	v_mul_f32_e32 v6, v23, v49
	v_mul_f32_e32 v7, v22, v49
	v_fmac_f32_e32 v6, v22, v48
	v_fma_f32 v7, v23, v48, -v7
	s_waitcnt vmcnt(6)
	v_mul_f32_e32 v0, v26, v47
	v_mul_f32_e32 v1, v25, v47
	v_mul_lo_u16 v22, v18, 24
	s_waitcnt vmcnt(5)
	v_mul_f32_e32 v2, v28, v53
	v_mul_f32_e32 v3, v27, v53
	ds_write_b64 v80, v[6:7] offset:256
	v_fmac_f32_e32 v0, v25, v46
	v_fma_f32 v1, v26, v46, -v1
	s_waitcnt vmcnt(4)
	v_mul_f32_e32 v4, v30, v51
	v_mul_f32_e32 v5, v29, v51
	v_fmac_f32_e32 v2, v27, v52
	s_waitcnt vmcnt(2)
	v_mul_f32_e32 v6, v32, v57
	v_mul_f32_e32 v7, v31, v57
	s_waitcnt vmcnt(0)
	v_mul_f32_e32 v8, v34, v59
	v_mul_f32_e32 v9, v33, v59
	v_fma_f32 v3, v28, v52, -v3
	v_fmac_f32_e32 v4, v29, v50
	v_fma_f32 v5, v30, v50, -v5
	v_fmac_f32_e32 v6, v31, v56
	;; [unrolled: 2-line block ×3, first 2 shown]
	v_fma_f32 v9, v34, v58, -v9
	ds_write_b64 v80, v[0:1] offset:768
	ds_write_b64 v81, v[2:3] offset:1280
	ds_write_b64 v81, v[4:5] offset:1792
	ds_write_b64 v81, v[6:7] offset:2304
	ds_write_b64 v81, v[8:9] offset:2816
	s_waitcnt lgkmcnt(0)
	s_barrier
	buffer_gl0_inv
	ds_read2_b64 v[0:3], v80 offset1:32
	ds_read2_b64 v[4:7], v81 offset0:128 offset1:160
	ds_read2_b64 v[8:11], v79 offset1:32
	ds_read2_b64 v[25:28], v80 offset0:64 offset1:96
	ds_read2_b64 v[29:32], v81 offset0:192 offset1:224
	;; [unrolled: 1-line block ×3, first 2 shown]
	v_and_b32_e32 v35, 0xf8, v22
	v_mad_u64_u32 v[22:23], null, v20, 24, s[10:11]
	v_mad_u64_u32 v[33:34], null, v21, 24, s[10:11]
	v_add_co_u32 v65, s8, s10, v35
	v_add_co_ci_u32_e64 v66, null, s11, 0, s8
	s_waitcnt lgkmcnt(0)
	s_barrier
	buffer_gl0_inv
	v_add_f32_e32 v35, v0, v4
	v_add_f32_e32 v67, v4, v8
	;; [unrolled: 1-line block ×3, first 2 shown]
	v_sub_f32_e32 v72, v30, v62
	v_add_f32_e32 v73, v26, v30
	v_add_f32_e32 v30, v30, v62
	v_sub_f32_e32 v68, v5, v9
	v_add_f32_e32 v69, v1, v5
	v_add_f32_e32 v5, v5, v9
	v_add_f32_e32 v70, v25, v29
	v_add_f32_e32 v74, v2, v6
	v_sub_f32_e32 v76, v7, v11
	v_add_f32_e32 v77, v3, v7
	v_add_f32_e32 v7, v7, v11
	;; [unrolled: 5-line block ×3, first 2 shown]
	v_sub_f32_e32 v4, v4, v8
	v_sub_f32_e32 v29, v29, v61
	v_add_f32_e32 v8, v35, v8
	v_fma_f32 v0, -0.5, v67, v0
	v_fma_f32 v35, -0.5, v71, v25
	;; [unrolled: 1-line block ×3, first 2 shown]
	v_add_f32_e32 v75, v6, v10
	v_sub_f32_e32 v93, v31, v63
	v_add_f32_e32 v9, v69, v9
	v_fma_f32 v1, -0.5, v5, v1
	v_add_f32_e32 v31, v70, v61
	v_add_f32_e32 v25, v73, v62
	;; [unrolled: 1-line block ×3, first 2 shown]
	v_fmac_f32_e32 v3, -0.5, v7
	v_add_f32_e32 v7, v78, v63
	v_fma_f32 v27, -0.5, v85, v27
	v_fmac_f32_e32 v28, -0.5, v32
	v_add_f32_e32 v63, v92, v64
	v_fmamk_f32 v64, v68, 0x3f5db3d7, v0
	v_fmac_f32_e32 v0, 0xbf5db3d7, v68
	v_fmamk_f32 v68, v72, 0x3f5db3d7, v35
	v_fmamk_f32 v69, v29, 0xbf5db3d7, v30
	v_add_f32_e32 v62, v77, v11
	v_fmac_f32_e32 v35, 0xbf5db3d7, v72
	v_fmac_f32_e32 v30, 0x3f5db3d7, v29
	v_sub_f32_e32 v6, v6, v10
	v_fma_f32 v2, -0.5, v75, v2
	v_fmamk_f32 v67, v4, 0xbf5db3d7, v1
	v_fmac_f32_e32 v1, 0x3f5db3d7, v4
	v_add_f32_e32 v4, v8, v31
	v_add_f32_e32 v5, v9, v25
	v_sub_f32_e32 v10, v8, v31
	v_sub_f32_e32 v11, v9, v25
	v_fmamk_f32 v8, v87, 0x3f5db3d7, v27
	v_add_f32_e32 v25, v61, v7
	v_sub_f32_e32 v31, v61, v7
	v_fmamk_f32 v7, v93, 0xbf5db3d7, v28
	v_fmac_f32_e32 v27, 0xbf5db3d7, v87
	v_fmac_f32_e32 v28, 0x3f5db3d7, v93
	v_mul_f32_e32 v29, 0x3f5db3d7, v69
	v_mul_f32_e32 v74, 0xbf5db3d7, v68
	v_add_f32_e32 v26, v62, v63
	v_sub_f32_e32 v32, v62, v63
	v_mul_f32_e32 v62, -0.5, v35
	v_mul_f32_e32 v75, -0.5, v30
	v_fmamk_f32 v70, v76, 0x3f5db3d7, v2
	v_fmac_f32_e32 v2, 0xbf5db3d7, v76
	v_mul_f32_e32 v76, 0x3f5db3d7, v7
	v_mul_f32_e32 v77, 0xbf5db3d7, v8
	v_mul_f32_e32 v72, -0.5, v27
	v_mul_f32_e32 v73, -0.5, v28
	v_fmac_f32_e32 v29, 0.5, v68
	v_fmac_f32_e32 v74, 0.5, v69
	v_fmac_f32_e32 v62, 0x3f5db3d7, v30
	v_fmac_f32_e32 v75, 0xbf5db3d7, v35
	v_fmamk_f32 v71, v6, 0xbf5db3d7, v3
	v_fmac_f32_e32 v76, 0.5, v8
	v_fmac_f32_e32 v77, 0.5, v7
	v_fmac_f32_e32 v3, 0x3f5db3d7, v6
	v_fmac_f32_e32 v72, 0x3f5db3d7, v28
	;; [unrolled: 1-line block ×3, first 2 shown]
	v_add_f32_e32 v6, v64, v29
	v_add_f32_e32 v7, v67, v74
	;; [unrolled: 1-line block ×4, first 2 shown]
	v_sub_f32_e32 v61, v64, v29
	v_sub_f32_e32 v63, v0, v62
	;; [unrolled: 1-line block ×4, first 2 shown]
	v_add_f32_e32 v27, v70, v76
	v_add_f32_e32 v28, v71, v77
	;; [unrolled: 1-line block ×4, first 2 shown]
	v_sub_f32_e32 v0, v70, v76
	v_sub_f32_e32 v2, v2, v72
	;; [unrolled: 1-line block ×4, first 2 shown]
	ds_write_b128 v83, v[4:7]
	ds_write_b128 v83, v[8:11] offset:16
	ds_write_b128 v83, v[61:64] offset:32
	ds_write_b128 v84, v[25:28]
	ds_write_b128 v84, v[29:32] offset:16
	ds_write_b128 v84, v[0:3] offset:32
	s_waitcnt lgkmcnt(0)
	s_barrier
	buffer_gl0_inv
	s_clause 0x5
	global_load_dwordx4 v[0:3], v[65:66], off
	global_load_dwordx4 v[4:7], v[22:23], off
	;; [unrolled: 1-line block ×3, first 2 shown]
	global_load_dwordx2 v[61:62], v[65:66], off offset:16
	global_load_dwordx2 v[65:66], v[22:23], off offset:16
	;; [unrolled: 1-line block ×3, first 2 shown]
	v_subrev_nc_u32_e32 v22, 24, v82
	v_mov_b32_e32 v23, 24
	v_lshrrev_b16 v77, 10, v19
	v_lshrrev_b16 v78, 10, v16
	v_add_nc_u32_e32 v85, 0x800, v80
	v_cndmask_b32_e32 v35, v22, v82, vcc_lo
	v_mul_u32_u24_sdwa v26, v15, v23 dst_sel:DWORD dst_unused:UNUSED_PAD src0_sel:WORD_0 src1_sel:DWORD
	v_mul_lo_u16 v22, v77, 24
	v_mul_lo_u16 v25, v78, 24
	v_mul_u32_u24_sdwa v23, v17, v23 dst_sel:DWORD dst_unused:UNUSED_PAD src0_sel:WORD_0 src1_sel:DWORD
	v_mul_i32_i24_e32 v16, 24, v35
	v_mul_hi_i32_i24_e32 v19, 24, v35
	v_sub_nc_u16 v17, v12, v22
	v_sub_nc_u16 v18, v13, v25
	v_and_or_b32 v22, 0xff, v14, v24
	v_or_b32_e32 v29, v26, v20
	v_or_b32_e32 v30, v23, v21
	v_add_co_u32 v33, vcc_lo, s10, v16
	v_add_co_ci_u32_e32 v34, vcc_lo, s11, v19, vcc_lo
	ds_read2_b64 v[12:15], v80 offset0:192 offset1:224
	v_and_b32_e32 v95, 0xff, v17
	v_and_b32_e32 v96, 0xff, v18
	ds_read2_b64 v[16:19], v80 offset0:128 offset1:160
	v_lshlrev_b32_e32 v87, 3, v22
	ds_read2_b64 v[20:23], v85 offset1:32
	ds_read2_b64 v[25:28], v85 offset0:64 offset1:96
	v_add_lshl_u32 v93, v24, v29, 3
	v_add_lshl_u32 v92, v24, v30, 3
	ds_read2_b64 v[29:32], v80 offset1:32
	ds_read2_b64 v[67:70], v80 offset0:64 offset1:96
	v_mad_u64_u32 v[73:74], null, v95, 24, s[10:11]
	v_mad_u64_u32 v[75:76], null, v96, 24, s[10:11]
	s_waitcnt vmcnt(0) lgkmcnt(0)
	s_barrier
	buffer_gl0_inv
	v_cmp_lt_u32_e32 vcc_lo, 23, v82
	v_mul_f32_e32 v71, v13, v3
	v_mul_f32_e32 v72, v12, v3
	;; [unrolled: 1-line block ×18, first 2 shown]
	v_fma_f32 v12, v12, v2, -v71
	v_fmac_f32_e32 v72, v13, v2
	v_fma_f32 v13, v14, v6, -v94
	v_fmac_f32_e32 v97, v15, v6
	v_fmac_f32_e32 v99, v17, v4
	v_fma_f32 v15, v22, v61, -v102
	v_fmac_f32_e32 v103, v23, v61
	v_fma_f32 v17, v20, v10, -v104
	v_fma_f32 v20, v69, v0, -v110
	v_fmac_f32_e32 v111, v70, v0
	v_fma_f32 v14, v16, v4, -v98
	v_fma_f32 v16, v18, v8, -v100
	;; [unrolled: 1-line block ×3, first 2 shown]
	v_fmac_f32_e32 v107, v26, v65
	v_fmac_f32_e32 v101, v19, v8
	v_fmac_f32_e32 v105, v21, v10
	v_fma_f32 v19, v27, v63, -v108
	v_fmac_f32_e32 v109, v28, v63
	v_sub_f32_e32 v21, v29, v12
	v_sub_f32_e32 v22, v30, v72
	;; [unrolled: 1-line block ×12, first 2 shown]
	v_fma_f32 v71, v29, 2.0, -v21
	v_fma_f32 v72, v30, 2.0, -v22
	;; [unrolled: 1-line block ×6, first 2 shown]
	v_sub_f32_e32 v12, v21, v12
	v_add_f32_e32 v13, v22, v13
	v_fma_f32 v27, v14, 2.0, -v15
	v_fma_f32 v28, v99, 2.0, -v17
	;; [unrolled: 1-line block ×6, first 2 shown]
	v_sub_f32_e32 v14, v25, v17
	v_sub_f32_e32 v16, v69, v19
	v_add_f32_e32 v17, v70, v18
	v_sub_f32_e32 v18, v71, v20
	v_sub_f32_e32 v19, v72, v23
	v_add_f32_e32 v15, v26, v15
	v_fma_f32 v20, v21, 2.0, -v12
	v_fma_f32 v21, v22, 2.0, -v13
	v_sub_f32_e32 v22, v94, v27
	v_sub_f32_e32 v23, v97, v28
	;; [unrolled: 1-line block ×4, first 2 shown]
	v_fma_f32 v31, v71, 2.0, -v18
	v_fma_f32 v32, v72, 2.0, -v19
	;; [unrolled: 1-line block ×10, first 2 shown]
	ds_write2_b64 v87, v[18:19], v[12:13] offset0:12 offset1:18
	ds_write2_b64 v87, v[31:32], v[20:21] offset1:6
	ds_write2_b64 v93, v[67:68], v[25:26] offset1:6
	ds_write2_b64 v93, v[22:23], v[14:15] offset0:12 offset1:18
	ds_write2_b64 v92, v[69:70], v[29:30] offset1:6
	ds_write2_b64 v92, v[27:28], v[16:17] offset0:12 offset1:18
	s_waitcnt lgkmcnt(0)
	s_barrier
	buffer_gl0_inv
	s_clause 0x5
	global_load_dwordx4 v[12:15], v[33:34], off offset:144
	global_load_dwordx4 v[16:19], v[73:74], off offset:144
	global_load_dwordx4 v[20:23], v[75:76], off offset:144
	global_load_dwordx2 v[71:72], v[33:34], off offset:160
	global_load_dwordx2 v[69:70], v[73:74], off offset:160
	;; [unrolled: 1-line block ×3, first 2 shown]
	v_cndmask_b32_e64 v25, 0, 0x60, vcc_lo
	v_mov_b32_e32 v29, 0x60
	ds_read2_b64 v[73:76], v85 offset1:32
	ds_read2_b64 v[98:101], v85 offset0:64 offset1:96
	v_mad_u64_u32 v[110:111], null, v82, 24, s[10:11]
	v_or_b32_e32 v33, v35, v25
	ds_read2_b64 v[25:28], v80 offset0:192 offset1:224
	v_mul_u32_u24_sdwa v34, v77, v29 dst_sel:DWORD dst_unused:UNUSED_PAD src0_sel:WORD_0 src1_sel:DWORD
	v_mul_u32_u24_sdwa v35, v78, v29 dst_sel:DWORD dst_unused:UNUSED_PAD src0_sel:WORD_0 src1_sel:DWORD
	ds_read2_b64 v[29:32], v80 offset0:128 offset1:160
	ds_read2_b64 v[102:105], v80 offset0:64 offset1:96
	ds_read2_b64 v[106:109], v80 offset1:32
	v_or_b32_e32 v77, v24, v33
	v_add_lshl_u32 v94, v24, v33, 3
	v_or_b32_e32 v33, v34, v95
	v_or_b32_e32 v34, v35, v96
	s_waitcnt vmcnt(0) lgkmcnt(0)
	v_lshlrev_b32_e32 v97, 3, v77
	s_barrier
	v_add_lshl_u32 v96, v24, v33, 3
	v_add_lshl_u32 v95, v24, v34, 3
	buffer_gl0_inv
	v_mul_f32_e32 v33, v25, v15
	v_mul_f32_e32 v24, v26, v15
	v_mul_f32_e32 v34, v28, v19
	v_mul_f32_e32 v77, v30, v17
	v_mul_f32_e32 v113, v31, v21
	v_mul_f32_e32 v114, v76, v72
	v_mul_f32_e32 v115, v75, v72
	v_mul_f32_e32 v122, v105, v13
	v_fmac_f32_e32 v33, v26, v14
	v_mul_f32_e32 v26, v104, v13
	v_mul_f32_e32 v35, v27, v19
	;; [unrolled: 1-line block ×10, first 2 shown]
	v_fma_f32 v24, v25, v14, -v24
	v_fma_f32 v25, v27, v18, -v34
	;; [unrolled: 1-line block ×3, first 2 shown]
	v_fmac_f32_e32 v113, v32, v20
	v_fma_f32 v29, v75, v71, -v114
	v_fmac_f32_e32 v115, v76, v71
	v_fma_f32 v32, v104, v12, -v122
	v_fmac_f32_e32 v26, v105, v12
	v_fmac_f32_e32 v35, v28, v18
	;; [unrolled: 1-line block ×3, first 2 shown]
	v_fma_f32 v28, v31, v20, -v112
	v_fma_f32 v30, v73, v22, -v116
	v_fma_f32 v31, v98, v69, -v118
	v_fmac_f32_e32 v119, v99, v69
	v_fmac_f32_e32 v117, v74, v22
	v_fma_f32 v34, v100, v67, -v120
	v_fmac_f32_e32 v121, v101, v67
	v_sub_f32_e32 v29, v32, v29
	v_sub_f32_e32 v73, v26, v115
	;; [unrolled: 1-line block ×12, first 2 shown]
	v_fma_f32 v32, v32, 2.0, -v29
	v_fma_f32 v99, v26, 2.0, -v73
	;; [unrolled: 1-line block ×4, first 2 shown]
	v_sub_f32_e32 v24, v74, v73
	v_fma_f32 v104, v108, 2.0, -v75
	v_fma_f32 v105, v109, 2.0, -v76
	;; [unrolled: 1-line block ×4, first 2 shown]
	v_add_f32_e32 v25, v33, v29
	v_fma_f32 v102, v102, 2.0, -v77
	v_fma_f32 v103, v103, 2.0, -v98
	v_sub_f32_e32 v26, v75, v31
	v_add_f32_e32 v27, v76, v30
	v_fma_f32 v106, v28, 2.0, -v34
	v_fma_f32 v107, v113, 2.0, -v35
	v_add_f32_e32 v29, v98, v34
	v_sub_f32_e32 v30, v100, v32
	v_sub_f32_e32 v31, v101, v99
	;; [unrolled: 1-line block ×5, first 2 shown]
	v_fma_f32 v32, v74, 2.0, -v24
	v_fma_f32 v73, v75, 2.0, -v26
	;; [unrolled: 1-line block ×3, first 2 shown]
	v_sub_f32_e32 v75, v102, v106
	v_sub_f32_e32 v76, v103, v107
	v_fma_f32 v78, v98, 2.0, -v29
	v_fma_f32 v98, v100, 2.0, -v30
	;; [unrolled: 1-line block ×9, first 2 shown]
	ds_write_b64 v97, v[98:99]
	ds_write2_b64 v94, v[32:33], v[30:31] offset0:24 offset1:48
	ds_write_b64 v94, v[24:25] offset:576
	ds_write2_b64 v96, v[100:101], v[73:74] offset1:24
	ds_write2_b64 v96, v[34:35], v[26:27] offset0:48 offset1:72
	ds_write2_b64 v95, v[102:103], v[77:78] offset1:24
	ds_write2_b64 v95, v[75:76], v[28:29] offset0:48 offset1:72
	s_waitcnt lgkmcnt(0)
	s_barrier
	buffer_gl0_inv
	s_clause 0x1
	global_load_dwordx4 v[24:27], v[110:111], off offset:720
	global_load_dwordx4 v[28:31], v[110:111], off offset:1488
	v_add_co_u32 v32, vcc_lo, 0x800, v110
	v_add_co_ci_u32_e32 v33, vcc_lo, 0, v111, vcc_lo
	s_clause 0x2
	global_load_dwordx4 v[32:35], v[32:33], off offset:208
	global_load_dwordx2 v[73:74], v[110:111], off offset:736
	global_load_dwordx2 v[77:78], v[110:111], off offset:1504
	v_add_co_u32 v75, vcc_lo, 0x8d0, v110
	v_add_co_ci_u32_e32 v76, vcc_lo, 0, v111, vcc_lo
	global_load_dwordx2 v[75:76], v[75:76], off offset:16
	ds_read2_b64 v[98:101], v80 offset0:192 offset1:224
	ds_read2_b64 v[102:105], v80 offset0:128 offset1:160
	ds_read2_b64 v[106:109], v85 offset1:32
	ds_read2_b64 v[110:113], v85 offset0:64 offset1:96
	ds_read2_b64 v[114:117], v80 offset1:32
	s_waitcnt vmcnt(5) lgkmcnt(4)
	v_mul_f32_e32 v118, v99, v27
	v_mul_f32_e32 v119, v98, v27
	s_waitcnt vmcnt(4)
	v_mul_f32_e32 v120, v101, v31
	v_mul_f32_e32 v121, v100, v31
	s_waitcnt lgkmcnt(3)
	v_mul_f32_e32 v122, v103, v29
	v_fma_f32 v98, v98, v26, -v118
	v_fmac_f32_e32 v119, v99, v26
	v_fma_f32 v99, v100, v30, -v120
	v_mul_f32_e32 v118, v102, v29
	s_waitcnt vmcnt(3)
	v_mul_f32_e32 v100, v105, v33
	v_mul_f32_e32 v120, v104, v33
	v_fmac_f32_e32 v121, v101, v30
	s_waitcnt vmcnt(2) lgkmcnt(2)
	v_mul_f32_e32 v101, v109, v74
	v_fmac_f32_e32 v118, v103, v28
	v_fma_f32 v103, v104, v32, -v100
	v_fmac_f32_e32 v120, v105, v32
	v_mul_f32_e32 v100, v107, v35
	v_mul_f32_e32 v105, v106, v35
	v_fma_f32 v102, v102, v28, -v122
	v_mul_f32_e32 v104, v108, v74
	s_waitcnt vmcnt(1) lgkmcnt(1)
	v_mul_f32_e32 v122, v111, v78
	v_fma_f32 v106, v106, v34, -v100
	v_fmac_f32_e32 v105, v107, v34
	v_mul_f32_e32 v107, v110, v78
	s_waitcnt vmcnt(0)
	v_mul_f32_e32 v100, v113, v76
	v_fma_f32 v108, v108, v73, -v101
	v_fmac_f32_e32 v104, v109, v73
	v_mul_f32_e32 v109, v112, v76
	v_fma_f32 v110, v110, v77, -v122
	v_fmac_f32_e32 v107, v111, v77
	v_fma_f32 v111, v112, v75, -v100
	s_waitcnt lgkmcnt(0)
	v_sub_f32_e32 v112, v114, v98
	v_sub_f32_e32 v122, v116, v99
	ds_read2_b64 v[98:101], v80 offset0:64 offset1:96
	v_fmac_f32_e32 v109, v113, v75
	v_sub_f32_e32 v119, v115, v119
	v_fma_f32 v123, v114, 2.0, -v112
	v_sub_f32_e32 v121, v117, v121
	v_fma_f32 v116, v116, 2.0, -v122
	v_fma_f32 v124, v115, 2.0, -v119
	;; [unrolled: 1-line block ×3, first 2 shown]
	s_waitcnt lgkmcnt(0)
	v_mul_f32_e32 v113, v100, v25
	v_sub_f32_e32 v114, v98, v106
	v_sub_f32_e32 v115, v99, v105
	;; [unrolled: 1-line block ×4, first 2 shown]
	v_fmac_f32_e32 v113, v101, v24
	v_mul_f32_e32 v101, v101, v25
	v_fma_f32 v125, v98, 2.0, -v114
	v_fma_f32 v126, v99, 2.0, -v115
	v_sub_f32_e32 v107, v120, v109
	v_fma_f32 v111, v118, 2.0, -v105
	v_fma_f32 v100, v100, v24, -v101
	v_sub_f32_e32 v101, v113, v104
	v_sub_f32_e32 v104, v102, v110
	v_fma_f32 v118, v120, 2.0, -v107
	v_sub_f32_e32 v98, v100, v108
	v_fma_f32 v109, v113, 2.0, -v101
	v_fma_f32 v110, v102, 2.0, -v104
	;; [unrolled: 1-line block ×3, first 2 shown]
	v_sub_f32_e32 v102, v114, v107
	v_fma_f32 v108, v100, 2.0, -v98
	v_add_f32_e32 v99, v119, v98
	v_sub_f32_e32 v98, v112, v101
	v_sub_f32_e32 v100, v122, v105
	v_add_f32_e32 v101, v121, v104
	v_add_f32_e32 v103, v115, v106
	v_fma_f32 v105, v119, 2.0, -v99
	v_fma_f32 v104, v112, 2.0, -v98
	v_sub_f32_e32 v106, v123, v108
	v_sub_f32_e32 v107, v124, v109
	;; [unrolled: 1-line block ×6, first 2 shown]
	ds_write_b64 v80, v[104:105] offset:768
	v_fma_f32 v104, v123, 2.0, -v106
	v_fma_f32 v105, v124, 2.0, -v107
	;; [unrolled: 1-line block ×10, first 2 shown]
	ds_write_b64 v80, v[104:105]
	ds_write_b64 v81, v[106:107] offset:1536
	ds_write_b64 v81, v[98:99] offset:2304
	;; [unrolled: 1-line block ×10, first 2 shown]
	s_waitcnt lgkmcnt(0)
	s_barrier
	buffer_gl0_inv
	s_clause 0xb
	global_load_dwordx2 v[98:99], v86, s[6:7]
	global_load_dwordx2 v[100:101], v86, s[6:7] offset:512
	global_load_dwordx2 v[102:103], v86, s[6:7] offset:1024
	;; [unrolled: 1-line block ×3, first 2 shown]
	global_load_dwordx2 v[106:107], v89, s[6:7]
	global_load_dwordx2 v[88:89], v88, s[6:7]
	global_load_dwordx2 v[108:109], v86, s[6:7] offset:768
	global_load_dwordx2 v[110:111], v86, s[6:7] offset:256
	;; [unrolled: 1-line block ×4, first 2 shown]
	global_load_dwordx2 v[116:117], v90, s[6:7]
	global_load_dwordx2 v[90:91], v91, s[6:7]
	ds_read_b64 v[118:119], v80
	ds_read_b64 v[120:121], v80 offset:512
	s_waitcnt vmcnt(11) lgkmcnt(1)
	v_mul_f32_e32 v86, v119, v99
	v_mul_f32_e32 v123, v118, v99
	s_waitcnt vmcnt(10) lgkmcnt(0)
	v_mul_f32_e32 v99, v120, v101
	v_fma_f32 v122, v118, v98, -v86
	v_mul_f32_e32 v86, v121, v101
	v_fmac_f32_e32 v123, v119, v98
	v_fmac_f32_e32 v99, v121, v100
	v_fma_f32 v98, v120, v100, -v86
	ds_write_b64 v80, v[122:123]
	ds_write_b64 v80, v[98:99] offset:512
	ds_read_b64 v[98:99], v81 offset:1024
	s_waitcnt vmcnt(9) lgkmcnt(0)
	v_mul_f32_e32 v86, v99, v103
	v_mul_f32_e32 v101, v98, v103
	v_fma_f32 v100, v98, v102, -v86
	v_fmac_f32_e32 v101, v99, v102
	ds_write_b64 v81, v[100:101] offset:1024
	ds_read_b64 v[98:99], v80 offset:1536
	s_waitcnt vmcnt(8) lgkmcnt(0)
	v_mul_f32_e32 v86, v99, v105
	v_mul_f32_e32 v101, v98, v105
	v_fma_f32 v100, v98, v104, -v86
	v_fmac_f32_e32 v101, v99, v104
	ds_write_b64 v80, v[100:101] offset:1536
	ds_read_b64 v[98:99], v81 offset:2048
	ds_read_b64 v[100:101], v81 offset:2560
	s_waitcnt vmcnt(7) lgkmcnt(1)
	v_mul_f32_e32 v86, v99, v107
	v_mul_f32_e32 v103, v98, v107
	s_waitcnt vmcnt(6) lgkmcnt(0)
	v_mul_f32_e32 v104, v101, v89
	v_mul_f32_e32 v105, v100, v89
	v_fma_f32 v102, v98, v106, -v86
	v_fmac_f32_e32 v103, v99, v106
	v_fma_f32 v104, v100, v88, -v104
	v_fmac_f32_e32 v105, v101, v88
	ds_write_b64 v81, v[102:103] offset:2048
	ds_write_b64 v81, v[104:105] offset:2560
	ds_read_b64 v[88:89], v80 offset:256
	ds_read_b64 v[98:99], v80 offset:768
	s_waitcnt vmcnt(4) lgkmcnt(1)
	v_mul_f32_e32 v86, v89, v111
	v_mul_f32_e32 v101, v88, v111
	s_waitcnt lgkmcnt(0)
	v_mul_f32_e32 v102, v99, v109
	v_mul_f32_e32 v103, v98, v109
	v_fma_f32 v100, v88, v110, -v86
	v_fmac_f32_e32 v101, v89, v110
	v_fma_f32 v102, v98, v108, -v102
	v_fmac_f32_e32 v103, v99, v108
	ds_write_b64 v80, v[100:101] offset:256
	ds_write_b64 v80, v[102:103] offset:768
	ds_read_b64 v[88:89], v81 offset:1280
	s_waitcnt vmcnt(2) lgkmcnt(0)
	v_mul_f32_e32 v86, v89, v115
	v_mul_f32_e32 v99, v88, v115
	v_fma_f32 v98, v88, v114, -v86
	v_fmac_f32_e32 v99, v89, v114
	ds_write_b64 v81, v[98:99] offset:1280
	ds_read_b64 v[88:89], v80 offset:1792
	s_waitcnt lgkmcnt(0)
	v_mul_f32_e32 v86, v89, v113
	v_mul_f32_e32 v99, v88, v113
	v_fma_f32 v98, v88, v112, -v86
	v_fmac_f32_e32 v99, v89, v112
	ds_write_b64 v80, v[98:99] offset:1792
	ds_read_b64 v[88:89], v81 offset:2304
	ds_read_b64 v[98:99], v81 offset:2816
	s_waitcnt vmcnt(1) lgkmcnt(1)
	v_mul_f32_e32 v86, v89, v117
	v_mul_f32_e32 v101, v88, v117
	s_waitcnt vmcnt(0) lgkmcnt(0)
	v_mul_f32_e32 v102, v99, v91
	v_mul_f32_e32 v103, v98, v91
	v_fma_f32 v100, v88, v116, -v86
	v_fmac_f32_e32 v101, v89, v116
	v_fma_f32 v102, v98, v90, -v102
	v_fmac_f32_e32 v103, v99, v90
	ds_write_b64 v81, v[100:101] offset:2304
	ds_write_b64 v81, v[102:103] offset:2816
	s_waitcnt lgkmcnt(0)
	s_barrier
	buffer_gl0_inv
	ds_read2_b64 v[88:91], v80 offset1:32
	ds_read2_b64 v[98:101], v81 offset0:128 offset1:160
	ds_read2_b64 v[102:105], v79 offset1:32
	ds_read2_b64 v[106:109], v80 offset0:192 offset1:224
	s_waitcnt lgkmcnt(2)
	v_add_f32_e32 v86, v88, v98
	s_waitcnt lgkmcnt(1)
	v_add_f32_e32 v110, v98, v102
	v_add_f32_e32 v111, v89, v99
	;; [unrolled: 1-line block ×3, first 2 shown]
	v_sub_f32_e32 v114, v99, v103
	v_sub_f32_e32 v117, v98, v102
	v_add_f32_e32 v112, v90, v100
	v_add_f32_e32 v120, v100, v104
	;; [unrolled: 1-line block ×3, first 2 shown]
	v_sub_f32_e32 v121, v101, v105
	v_add_f32_e32 v122, v101, v105
	v_sub_f32_e32 v123, v100, v104
	ds_read2_b64 v[98:101], v79 offset0:64 offset1:96
	v_add_f32_e32 v124, v86, v102
	v_add_f32_e32 v111, v111, v103
	;; [unrolled: 1-line block ×4, first 2 shown]
	ds_read2_b64 v[102:105], v80 offset0:64 offset1:96
	v_fma_f32 v88, -0.5, v110, v88
	v_fmac_f32_e32 v91, -0.5, v122
	v_fma_f32 v90, -0.5, v120, v90
	s_waitcnt lgkmcnt(0)
	s_barrier
	buffer_gl0_inv
	v_add_f32_e32 v118, v107, v99
	v_add_f32_e32 v119, v108, v100
	;; [unrolled: 1-line block ×4, first 2 shown]
	v_sub_f32_e32 v125, v106, v98
	v_add_f32_e32 v86, v102, v106
	v_add_f32_e32 v106, v103, v107
	;; [unrolled: 1-line block ×3, first 2 shown]
	v_fmac_f32_e32 v105, -0.5, v128
	v_fma_f32 v103, -0.5, v118, v103
	v_fma_f32 v128, -0.5, v119, v104
	v_mad_u64_u32 v[118:119], null, s2, v60, 0
	v_sub_f32_e32 v126, v107, v99
	v_add_f32_e32 v107, v104, v108
	v_sub_f32_e32 v108, v108, v100
	v_add_f32_e32 v129, v86, v98
	;; [unrolled: 2-line block ×3, first 2 shown]
	v_mov_b32_e32 v98, v119
	v_add_f32_e32 v101, v127, v101
	v_fmamk_f32 v127, v108, 0x3f5db3d7, v105
	v_fmac_f32_e32 v105, 0xbf5db3d7, v108
	v_fma_f32 v108, -0.5, v116, v102
	v_mad_u64_u32 v[98:99], null, s3, v60, v[98:99]
	v_fmamk_f32 v60, v125, 0x3f5db3d7, v103
	v_fmac_f32_e32 v103, 0xbf5db3d7, v125
	v_fmamk_f32 v110, v126, 0xbf5db3d7, v108
	v_fmac_f32_e32 v108, 0x3f5db3d7, v126
	v_add_f32_e32 v100, v107, v100
	v_add_f32_e32 v107, v113, v101
	v_mul_f32_e32 v116, 0xbf5db3d7, v103
	v_sub_f32_e32 v113, v113, v101
	v_fmamk_f32 v101, v114, 0xbf5db3d7, v88
	v_fmac_f32_e32 v88, 0x3f5db3d7, v114
	v_mul_f32_e32 v86, 0xbf5db3d7, v105
	v_fmac_f32_e32 v116, -0.5, v108
	v_mul_f32_e32 v130, -0.5, v105
	v_add_f32_e32 v99, v111, v106
	v_sub_f32_e32 v105, v111, v106
	v_mul_f32_e32 v111, 0xbf5db3d7, v60
	v_add_f32_e32 v102, v88, v116
	v_sub_f32_e32 v116, v88, v116
	v_mul_f32_e32 v60, 0.5, v60
	v_fma_f32 v88, -0.5, v115, v89
	v_fmac_f32_e32 v111, 0.5, v110
	v_add_f32_e32 v106, v112, v100
	v_sub_f32_e32 v112, v112, v100
	v_fmac_f32_e32 v60, 0x3f5db3d7, v110
	v_fmamk_f32 v89, v117, 0x3f5db3d7, v88
	v_add_f32_e32 v100, v101, v111
	v_sub_f32_e32 v114, v101, v111
	v_fmac_f32_e32 v88, 0xbf5db3d7, v117
	v_mov_b32_e32 v119, v98
	v_add_f32_e32 v101, v89, v60
	v_sub_f32_e32 v115, v89, v60
	v_mul_f32_e32 v60, -0.5, v103
	v_fmamk_f32 v89, v123, 0x3f5db3d7, v91
	v_fmac_f32_e32 v91, 0xbf5db3d7, v123
	v_mul_f32_e32 v123, 0.5, v127
	v_add_f32_e32 v98, v124, v129
	v_fmac_f32_e32 v60, 0x3f5db3d7, v108
	v_sub_f32_e32 v104, v124, v129
	s_lshl_b64 s[2:3], s[0:1], 9
	v_add_f32_e32 v103, v88, v60
	v_sub_f32_e32 v117, v88, v60
	v_fmamk_f32 v60, v109, 0xbf5db3d7, v128
	v_fmac_f32_e32 v128, 0x3f5db3d7, v109
	v_mul_f32_e32 v109, 0xbf5db3d7, v127
	v_fmamk_f32 v88, v121, 0xbf5db3d7, v90
	v_fmac_f32_e32 v90, 0x3f5db3d7, v121
	v_fmac_f32_e32 v123, 0x3f5db3d7, v60
	;; [unrolled: 1-line block ×3, first 2 shown]
	v_fmac_f32_e32 v109, 0.5, v60
	v_fmac_f32_e32 v86, -0.5, v128
	v_mad_u64_u32 v[120:121], null, s0, v82, 0
	v_add_f32_e32 v111, v91, v130
	v_add_f32_e32 v108, v88, v109
	v_sub_f32_e32 v88, v88, v109
	v_add_f32_e32 v109, v89, v123
	v_sub_f32_e32 v91, v91, v130
	;; [unrolled: 2-line block ×3, first 2 shown]
	v_sub_f32_e32 v89, v89, v123
	ds_write_b128 v83, v[98:101]
	ds_write_b128 v83, v[102:105] offset:16
	ds_write_b128 v83, v[114:117] offset:32
	ds_write_b128 v84, v[106:109]
	ds_write_b128 v84, v[110:113] offset:16
	ds_write_b128 v84, v[88:91] offset:32
	s_waitcnt lgkmcnt(0)
	s_barrier
	buffer_gl0_inv
	ds_read2_b64 v[88:91], v85 offset0:64 offset1:96
	ds_read2_b64 v[98:101], v85 offset1:32
	ds_read2_b64 v[102:105], v80 offset0:128 offset1:160
	ds_read2_b64 v[106:109], v80 offset0:192 offset1:224
	;; [unrolled: 1-line block ×3, first 2 shown]
	ds_read2_b64 v[114:117], v80 offset1:32
	v_mov_b32_e32 v60, v121
	s_waitcnt lgkmcnt(0)
	s_barrier
	buffer_gl0_inv
	v_mad_u64_u32 v[121:122], null, s1, v82, v[60:61]
	v_lshlrev_b64 v[82:83], 3, v[118:119]
	s_mulk_i32 s1, 0xf700
	v_add_co_u32 v84, vcc_lo, s4, v82
	v_add_co_ci_u32_e32 v86, vcc_lo, s5, v83, vcc_lo
	v_mul_f32_e32 v60, v66, v89
	v_mul_f32_e32 v66, v66, v88
	;; [unrolled: 1-line block ×6, first 2 shown]
	v_fmac_f32_e32 v60, v65, v88
	v_fma_f32 v65, v65, v89, -v66
	v_mul_f32_e32 v89, v3, v107
	v_fmac_f32_e32 v83, v61, v100
	v_fma_f32 v61, v61, v101, -v62
	v_mul_f32_e32 v3, v3, v106
	v_mul_f32_e32 v62, v1, v113
	;; [unrolled: 1-line block ×3, first 2 shown]
	v_fmac_f32_e32 v82, v63, v90
	v_fma_f32 v63, v63, v91, -v64
	v_mul_f32_e32 v64, v5, v103
	v_mul_f32_e32 v5, v5, v102
	;; [unrolled: 1-line block ×4, first 2 shown]
	v_lshlrev_b64 v[118:119], 3, v[120:121]
	v_mul_f32_e32 v120, v11, v99
	v_mul_f32_e32 v11, v11, v98
	;; [unrolled: 1-line block ×4, first 2 shown]
	v_fmac_f32_e32 v89, v2, v106
	v_fma_f32 v2, v2, v107, -v3
	v_fmac_f32_e32 v62, v0, v112
	v_fma_f32 v0, v0, v113, -v1
	;; [unrolled: 2-line block ×6, first 2 shown]
	v_sub_f32_e32 v9, v114, v89
	v_sub_f32_e32 v11, v115, v2
	;; [unrolled: 1-line block ×12, first 2 shown]
	v_fma_f32 v82, v114, 2.0, -v9
	v_fma_f32 v83, v115, 2.0, -v11
	;; [unrolled: 1-line block ×6, first 2 shown]
	v_add_f32_e32 v0, v9, v2
	v_sub_f32_e32 v1, v11, v1
	v_fma_f32 v61, v64, 2.0, -v3
	v_fma_f32 v62, v4, 2.0, -v5
	;; [unrolled: 1-line block ×6, first 2 shown]
	v_add_f32_e32 v2, v88, v5
	v_add_f32_e32 v4, v90, v7
	v_sub_f32_e32 v5, v91, v6
	v_sub_f32_e32 v6, v82, v10
	;; [unrolled: 1-line block ×4, first 2 shown]
	v_fma_f32 v8, v9, 2.0, -v0
	v_fma_f32 v9, v11, 2.0, -v1
	v_sub_f32_e32 v10, v98, v61
	v_sub_f32_e32 v11, v99, v62
	;; [unrolled: 1-line block ×4, first 2 shown]
	v_fma_f32 v82, v82, 2.0, -v6
	v_fma_f32 v83, v83, 2.0, -v7
	;; [unrolled: 1-line block ×10, first 2 shown]
	ds_write2_b64 v87, v[6:7], v[0:1] offset0:12 offset1:18
	ds_write2_b64 v87, v[82:83], v[8:9] offset1:6
	ds_write2_b64 v93, v[88:89], v[60:61] offset1:6
	ds_write2_b64 v93, v[10:11], v[2:3] offset0:12 offset1:18
	ds_write2_b64 v92, v[90:91], v[64:65] offset1:6
	ds_write2_b64 v92, v[62:63], v[4:5] offset0:12 offset1:18
	v_add_co_u32 v0, vcc_lo, v84, v118
	s_waitcnt lgkmcnt(0)
	s_barrier
	buffer_gl0_inv
	ds_read2_b64 v[6:9], v85 offset1:32
	v_add_co_ci_u32_e32 v1, vcc_lo, v86, v119, vcc_lo
	ds_read2_b64 v[60:63], v80 offset0:128 offset1:160
	ds_read2_b64 v[86:89], v80 offset0:192 offset1:224
	ds_read2_b64 v[90:93], v80 offset0:64 offset1:96
	ds_read2_b64 v[98:101], v85 offset0:64 offset1:96
	ds_read2_b64 v[102:105], v80 offset1:32
	s_waitcnt lgkmcnt(0)
	s_barrier
	buffer_gl0_inv
	v_add_co_u32 v2, vcc_lo, v0, s2
	v_add_co_ci_u32_e32 v3, vcc_lo, s3, v1, vcc_lo
	v_add_co_u32 v4, vcc_lo, v2, s2
	v_add_co_ci_u32_e32 v5, vcc_lo, s3, v3, vcc_lo
	v_mul_f32_e32 v10, v72, v9
	v_mul_f32_e32 v11, v72, v8
	;; [unrolled: 1-line block ×18, first 2 shown]
	v_fmac_f32_e32 v10, v71, v8
	v_fma_f32 v8, v71, v9, -v11
	v_fmac_f32_e32 v82, v14, v86
	v_fma_f32 v14, v14, v87, -v15
	;; [unrolled: 2-line block ×9, first 2 shown]
	v_sub_f32_e32 v16, v102, v82
	v_sub_f32_e32 v17, v103, v14
	;; [unrolled: 1-line block ×12, first 2 shown]
	v_fma_f32 v60, v102, 2.0, -v16
	v_fma_f32 v61, v103, 2.0, -v17
	;; [unrolled: 1-line block ×4, first 2 shown]
	v_add_f32_e32 v6, v16, v8
	v_sub_f32_e32 v7, v17, v10
	v_fma_f32 v63, v104, 2.0, -v18
	v_fma_f32 v64, v105, 2.0, -v19
	;; [unrolled: 1-line block ×4, first 2 shown]
	v_add_f32_e32 v8, v18, v13
	v_fma_f32 v68, v90, 2.0, -v22
	v_fma_f32 v69, v91, 2.0, -v23
	;; [unrolled: 1-line block ×4, first 2 shown]
	v_sub_f32_e32 v12, v60, v21
	v_sub_f32_e32 v13, v61, v62
	;; [unrolled: 1-line block ×3, first 2 shown]
	v_add_f32_e32 v10, v22, v15
	v_fma_f32 v14, v16, 2.0, -v6
	v_fma_f32 v15, v17, 2.0, -v7
	v_sub_f32_e32 v16, v63, v66
	v_sub_f32_e32 v17, v64, v67
	;; [unrolled: 1-line block ×5, first 2 shown]
	v_fma_f32 v60, v60, 2.0, -v12
	v_fma_f32 v61, v61, 2.0, -v13
	;; [unrolled: 1-line block ×10, first 2 shown]
	ds_write_b64 v97, v[60:61]
	ds_write2_b64 v94, v[14:15], v[12:13] offset0:24 offset1:48
	ds_write_b64 v94, v[6:7] offset:576
	ds_write2_b64 v96, v[62:63], v[18:19] offset1:24
	ds_write2_b64 v96, v[16:17], v[8:9] offset0:48 offset1:72
	ds_write2_b64 v95, v[64:65], v[22:23] offset1:24
	ds_write2_b64 v95, v[20:21], v[10:11] offset0:48 offset1:72
	s_waitcnt lgkmcnt(0)
	s_barrier
	buffer_gl0_inv
	ds_read2_b64 v[12:15], v80 offset0:64 offset1:96
	ds_read2_b64 v[16:19], v80 offset0:192 offset1:224
	ds_read2_b64 v[20:23], v85 offset1:32
	ds_read2_b64 v[60:63], v80 offset0:128 offset1:160
	ds_read2_b64 v[64:67], v85 offset0:64 offset1:96
	ds_read2_b64 v[68:71], v80 offset1:32
	v_add_nc_u32_e32 v72, 0x400, v81
	v_add_co_u32 v6, vcc_lo, v4, s2
	v_add_co_ci_u32_e32 v7, vcc_lo, s3, v5, vcc_lo
	v_add_co_u32 v8, vcc_lo, v6, s2
	v_add_co_ci_u32_e32 v9, vcc_lo, s3, v7, vcc_lo
	v_add_co_u32 v10, vcc_lo, v8, s2
	v_add_co_ci_u32_e32 v11, vcc_lo, s3, v9, vcc_lo
	s_waitcnt lgkmcnt(4)
	v_mul_f32_e32 v85, v27, v17
	v_mul_f32_e32 v84, v25, v15
	;; [unrolled: 1-line block ×4, first 2 shown]
	s_waitcnt lgkmcnt(3)
	v_mul_f32_e32 v86, v74, v23
	v_mul_f32_e32 v74, v74, v22
	s_waitcnt lgkmcnt(2)
	v_mul_f32_e32 v87, v29, v61
	v_mul_f32_e32 v88, v31, v19
	;; [unrolled: 1-line block ×4, first 2 shown]
	s_waitcnt lgkmcnt(1)
	v_mul_f32_e32 v89, v78, v65
	v_mul_f32_e32 v78, v78, v64
	;; [unrolled: 1-line block ×8, first 2 shown]
	v_fmac_f32_e32 v84, v24, v14
	v_fma_f32 v14, v24, v15, -v25
	v_fmac_f32_e32 v85, v26, v16
	v_fma_f32 v15, v26, v17, -v27
	;; [unrolled: 2-line block ×9, first 2 shown]
	s_waitcnt lgkmcnt(0)
	v_sub_f32_e32 v23, v68, v85
	v_sub_f32_e32 v24, v69, v15
	;; [unrolled: 1-line block ×12, first 2 shown]
	v_fma_f32 v30, v68, 2.0, -v23
	v_fma_f32 v31, v69, 2.0, -v24
	;; [unrolled: 1-line block ×4, first 2 shown]
	v_add_f32_e32 v14, v23, v17
	v_fma_f32 v33, v70, 2.0, -v25
	v_fma_f32 v34, v71, 2.0, -v26
	;; [unrolled: 1-line block ×4, first 2 shown]
	v_sub_f32_e32 v15, v24, v15
	v_add_f32_e32 v16, v25, v16
	v_sub_f32_e32 v17, v26, v27
	v_fma_f32 v61, v12, 2.0, -v28
	v_fma_f32 v62, v13, 2.0, -v29
	;; [unrolled: 1-line block ×4, first 2 shown]
	v_sub_f32_e32 v13, v29, v19
	v_sub_f32_e32 v18, v30, v21
	v_sub_f32_e32 v19, v31, v32
	v_add_f32_e32 v12, v28, v20
	v_fma_f32 v20, v23, 2.0, -v14
	v_sub_f32_e32 v22, v33, v35
	v_sub_f32_e32 v23, v34, v60
	v_fma_f32 v21, v24, 2.0, -v15
	v_fma_f32 v24, v25, 2.0, -v16
	;; [unrolled: 1-line block ×3, first 2 shown]
	v_sub_f32_e32 v26, v61, v27
	v_sub_f32_e32 v27, v62, v63
	v_fma_f32 v30, v30, 2.0, -v18
	v_fma_f32 v31, v31, 2.0, -v19
	;; [unrolled: 1-line block ×8, first 2 shown]
	ds_write2_b64 v80, v[20:21], v[18:19] offset0:96 offset1:192
	ds_write_b64 v80, v[30:31]
	ds_write_b64 v81, v[14:15] offset:2304
	ds_write_b64 v80, v[32:33] offset:256
	;; [unrolled: 1-line block ×6, first 2 shown]
	ds_write2_b64 v72, v[28:29], v[26:27] offset0:32 offset1:128
	ds_write_b64 v81, v[12:13] offset:2816
	s_waitcnt lgkmcnt(0)
	s_barrier
	buffer_gl0_inv
	ds_read2_b64 v[12:15], v80 offset1:32
	ds_read2_b64 v[16:19], v80 offset0:64 offset1:96
	ds_read2_b64 v[20:23], v81 offset0:128 offset1:160
	;; [unrolled: 1-line block ×3, first 2 shown]
	ds_read2_b64 v[28:31], v79 offset1:32
	ds_read2_b64 v[32:35], v79 offset0:64 offset1:96
	v_mad_u64_u32 v[82:83], null, 0xfffff700, s0, v[10:11]
	s_sub_i32 s0, s1, s0
	v_add_nc_u32_e32 v83, s0, v83
	s_mov_b32 s0, 0x55555555
	s_mov_b32 s1, 0x3f655555
	v_add_co_u32 v60, vcc_lo, v82, s2
	v_add_co_ci_u32_e32 v61, vcc_lo, s3, v83, vcc_lo
	s_waitcnt lgkmcnt(5)
	v_mul_f32_e32 v64, v41, v13
	v_mul_f32_e32 v41, v41, v12
	s_waitcnt lgkmcnt(4)
	v_mul_f32_e32 v65, v39, v17
	v_mul_f32_e32 v39, v39, v16
	;; [unrolled: 3-line block ×6, first 2 shown]
	v_mul_f32_e32 v70, v49, v15
	v_mul_f32_e32 v49, v49, v14
	v_fmac_f32_e32 v64, v40, v12
	v_fma_f32 v40, v40, v13, -v41
	v_mul_f32_e32 v71, v47, v19
	v_mul_f32_e32 v47, v47, v18
	v_fmac_f32_e32 v65, v38, v16
	v_fma_f32 v38, v38, v17, -v39
	;; [unrolled: 4-line block ×6, first 2 shown]
	v_fmac_f32_e32 v70, v48, v14
	v_fma_f32 v42, v48, v15, -v49
	v_cvt_f64_f32_e32 v[12:13], v64
	v_cvt_f64_f32_e32 v[14:15], v40
	v_fmac_f32_e32 v71, v46, v18
	v_fma_f32 v43, v46, v19, -v47
	v_cvt_f64_f32_e32 v[16:17], v65
	v_cvt_f64_f32_e32 v[18:19], v38
	;; [unrolled: 4-line block ×6, first 2 shown]
	v_cvt_f64_f32_e32 v[36:37], v70
	v_cvt_f64_f32_e32 v[38:39], v42
	;; [unrolled: 1-line block ×12, first 2 shown]
	v_mul_f64 v[12:13], v[12:13], s[0:1]
	v_mul_f64 v[14:15], v[14:15], s[0:1]
	;; [unrolled: 1-line block ×24, first 2 shown]
	v_cvt_f32_f64_e32 v12, v[12:13]
	v_cvt_f32_f64_e32 v13, v[14:15]
	;; [unrolled: 1-line block ×10, first 2 shown]
	v_add_co_u32 v62, vcc_lo, v60, s2
	v_cvt_f32_f64_e32 v22, v[32:33]
	v_cvt_f32_f64_e32 v23, v[34:35]
	;; [unrolled: 1-line block ×4, first 2 shown]
	v_add_co_ci_u32_e32 v63, vcc_lo, s3, v61, vcc_lo
	v_cvt_f32_f64_e32 v26, v[40:41]
	v_cvt_f32_f64_e32 v27, v[42:43]
	;; [unrolled: 1-line block ×8, first 2 shown]
	v_add_co_u32 v36, vcc_lo, v62, s2
	v_cvt_f32_f64_e32 v34, v[56:57]
	v_cvt_f32_f64_e32 v35, v[58:59]
	v_add_co_ci_u32_e32 v37, vcc_lo, s3, v63, vcc_lo
	v_add_co_u32 v38, vcc_lo, v36, s2
	v_add_co_ci_u32_e32 v39, vcc_lo, s3, v37, vcc_lo
	v_add_co_u32 v40, vcc_lo, v38, s2
	v_add_co_ci_u32_e32 v41, vcc_lo, s3, v39, vcc_lo
	global_store_dwordx2 v[0:1], v[12:13], off
	global_store_dwordx2 v[2:3], v[14:15], off
	;; [unrolled: 1-line block ×12, first 2 shown]
.LBB0_2:
	s_endpgm
	.section	.rodata,"a",@progbits
	.p2align	6, 0x0
	.amdhsa_kernel bluestein_single_fwd_len384_dim1_sp_op_CI_CI
		.amdhsa_group_segment_fixed_size 12288
		.amdhsa_private_segment_fixed_size 0
		.amdhsa_kernarg_size 104
		.amdhsa_user_sgpr_count 6
		.amdhsa_user_sgpr_private_segment_buffer 1
		.amdhsa_user_sgpr_dispatch_ptr 0
		.amdhsa_user_sgpr_queue_ptr 0
		.amdhsa_user_sgpr_kernarg_segment_ptr 1
		.amdhsa_user_sgpr_dispatch_id 0
		.amdhsa_user_sgpr_flat_scratch_init 0
		.amdhsa_user_sgpr_private_segment_size 0
		.amdhsa_wavefront_size32 1
		.amdhsa_uses_dynamic_stack 0
		.amdhsa_system_sgpr_private_segment_wavefront_offset 0
		.amdhsa_system_sgpr_workgroup_id_x 1
		.amdhsa_system_sgpr_workgroup_id_y 0
		.amdhsa_system_sgpr_workgroup_id_z 0
		.amdhsa_system_sgpr_workgroup_info 0
		.amdhsa_system_vgpr_workitem_id 0
		.amdhsa_next_free_vgpr 131
		.amdhsa_next_free_sgpr 20
		.amdhsa_reserve_vcc 1
		.amdhsa_reserve_flat_scratch 0
		.amdhsa_float_round_mode_32 0
		.amdhsa_float_round_mode_16_64 0
		.amdhsa_float_denorm_mode_32 3
		.amdhsa_float_denorm_mode_16_64 3
		.amdhsa_dx10_clamp 1
		.amdhsa_ieee_mode 1
		.amdhsa_fp16_overflow 0
		.amdhsa_workgroup_processor_mode 1
		.amdhsa_memory_ordered 1
		.amdhsa_forward_progress 0
		.amdhsa_shared_vgpr_count 0
		.amdhsa_exception_fp_ieee_invalid_op 0
		.amdhsa_exception_fp_denorm_src 0
		.amdhsa_exception_fp_ieee_div_zero 0
		.amdhsa_exception_fp_ieee_overflow 0
		.amdhsa_exception_fp_ieee_underflow 0
		.amdhsa_exception_fp_ieee_inexact 0
		.amdhsa_exception_int_div_zero 0
	.end_amdhsa_kernel
	.text
.Lfunc_end0:
	.size	bluestein_single_fwd_len384_dim1_sp_op_CI_CI, .Lfunc_end0-bluestein_single_fwd_len384_dim1_sp_op_CI_CI
                                        ; -- End function
	.section	.AMDGPU.csdata,"",@progbits
; Kernel info:
; codeLenInByte = 8308
; NumSgprs: 22
; NumVgprs: 131
; ScratchSize: 0
; MemoryBound: 0
; FloatMode: 240
; IeeeMode: 1
; LDSByteSize: 12288 bytes/workgroup (compile time only)
; SGPRBlocks: 2
; VGPRBlocks: 16
; NumSGPRsForWavesPerEU: 22
; NumVGPRsForWavesPerEU: 131
; Occupancy: 7
; WaveLimiterHint : 1
; COMPUTE_PGM_RSRC2:SCRATCH_EN: 0
; COMPUTE_PGM_RSRC2:USER_SGPR: 6
; COMPUTE_PGM_RSRC2:TRAP_HANDLER: 0
; COMPUTE_PGM_RSRC2:TGID_X_EN: 1
; COMPUTE_PGM_RSRC2:TGID_Y_EN: 0
; COMPUTE_PGM_RSRC2:TGID_Z_EN: 0
; COMPUTE_PGM_RSRC2:TIDIG_COMP_CNT: 0
	.text
	.p2alignl 6, 3214868480
	.fill 48, 4, 3214868480
	.type	__hip_cuid_77c58b91e0743d08,@object ; @__hip_cuid_77c58b91e0743d08
	.section	.bss,"aw",@nobits
	.globl	__hip_cuid_77c58b91e0743d08
__hip_cuid_77c58b91e0743d08:
	.byte	0                               ; 0x0
	.size	__hip_cuid_77c58b91e0743d08, 1

	.ident	"AMD clang version 19.0.0git (https://github.com/RadeonOpenCompute/llvm-project roc-6.4.0 25133 c7fe45cf4b819c5991fe208aaa96edf142730f1d)"
	.section	".note.GNU-stack","",@progbits
	.addrsig
	.addrsig_sym __hip_cuid_77c58b91e0743d08
	.amdgpu_metadata
---
amdhsa.kernels:
  - .args:
      - .actual_access:  read_only
        .address_space:  global
        .offset:         0
        .size:           8
        .value_kind:     global_buffer
      - .actual_access:  read_only
        .address_space:  global
        .offset:         8
        .size:           8
        .value_kind:     global_buffer
      - .actual_access:  read_only
        .address_space:  global
        .offset:         16
        .size:           8
        .value_kind:     global_buffer
      - .actual_access:  read_only
        .address_space:  global
        .offset:         24
        .size:           8
        .value_kind:     global_buffer
      - .actual_access:  read_only
        .address_space:  global
        .offset:         32
        .size:           8
        .value_kind:     global_buffer
      - .offset:         40
        .size:           8
        .value_kind:     by_value
      - .address_space:  global
        .offset:         48
        .size:           8
        .value_kind:     global_buffer
      - .address_space:  global
        .offset:         56
        .size:           8
        .value_kind:     global_buffer
      - .address_space:  global
        .offset:         64
        .size:           8
        .value_kind:     global_buffer
      - .address_space:  global
        .offset:         72
        .size:           8
        .value_kind:     global_buffer
      - .offset:         80
        .size:           4
        .value_kind:     by_value
      - .address_space:  global
        .offset:         88
        .size:           8
        .value_kind:     global_buffer
      - .address_space:  global
        .offset:         96
        .size:           8
        .value_kind:     global_buffer
    .group_segment_fixed_size: 12288
    .kernarg_segment_align: 8
    .kernarg_segment_size: 104
    .language:       OpenCL C
    .language_version:
      - 2
      - 0
    .max_flat_workgroup_size: 128
    .name:           bluestein_single_fwd_len384_dim1_sp_op_CI_CI
    .private_segment_fixed_size: 0
    .sgpr_count:     22
    .sgpr_spill_count: 0
    .symbol:         bluestein_single_fwd_len384_dim1_sp_op_CI_CI.kd
    .uniform_work_group_size: 1
    .uses_dynamic_stack: false
    .vgpr_count:     131
    .vgpr_spill_count: 0
    .wavefront_size: 32
    .workgroup_processor_mode: 1
amdhsa.target:   amdgcn-amd-amdhsa--gfx1030
amdhsa.version:
  - 1
  - 2
...

	.end_amdgpu_metadata
